;; amdgpu-corpus repo=ROCm/HIPIFY kind=compiled arch=gfx906 opt=O3
	.amdgcn_target "amdgcn-amd-amdhsa--gfx906"
	.amdhsa_code_object_version 6
	.text
	.protected	_Z2fnPfS_               ; -- Begin function _Z2fnPfS_
	.globl	_Z2fnPfS_
	.p2align	8
	.type	_Z2fnPfS_,@function
_Z2fnPfS_:                              ; @_Z2fnPfS_
; %bb.0:
	s_load_dwordx4 s[44:47], s[4:5], 0x0
	s_waitcnt lgkmcnt(0)
	s_load_dwordx16 s[16:31], s[44:45], 0x0
	s_load_dwordx16 s[0:15], s[44:45], 0x40
	s_load_dwordx2 s[34:35], s[44:45], 0xa0
	s_load_dwordx8 s[36:43], s[44:45], 0x80
	s_add_u32 s50, s44, 0xa8
	s_addc_u32 s51, s45, 0
	s_add_u32 s48, s46, 0x114
	s_waitcnt lgkmcnt(0)
	v_cmp_ngt_f32_e64 s[52:53], s16, 0
	s_addc_u32 s49, s47, 0
	s_and_b64 vcc, exec, s[52:53]
	s_cbranch_vccz .LBB0_43
; %bb.1:
	v_cmp_ngt_f32_e64 s[16:17], s17, 0
	s_and_b64 vcc, exec, s[16:17]
	s_cbranch_vccz .LBB0_44
.LBB0_2:
	v_cmp_ngt_f32_e64 s[16:17], s18, 0
	s_and_b64 vcc, exec, s[16:17]
	s_cbranch_vccz .LBB0_45
.LBB0_3:
	v_cmp_ngt_f32_e64 s[16:17], s19, 0
	s_and_b64 vcc, exec, s[16:17]
	s_cbranch_vccz .LBB0_46
.LBB0_4:
	v_cmp_ngt_f32_e64 s[16:17], s20, 0
	s_and_b64 vcc, exec, s[16:17]
	s_cbranch_vccz .LBB0_47
.LBB0_5:
	v_cmp_ngt_f32_e64 s[16:17], s21, 0
	s_and_b64 vcc, exec, s[16:17]
	s_cbranch_vccz .LBB0_48
.LBB0_6:
	v_cmp_ngt_f32_e64 s[16:17], s22, 0
	s_and_b64 vcc, exec, s[16:17]
	s_cbranch_vccz .LBB0_49
.LBB0_7:
	v_cmp_ngt_f32_e64 s[16:17], s23, 0
	s_and_b64 vcc, exec, s[16:17]
	s_cbranch_vccz .LBB0_50
.LBB0_8:
	v_cmp_ngt_f32_e64 s[16:17], s24, 0
	s_and_b64 vcc, exec, s[16:17]
	s_cbranch_vccz .LBB0_51
.LBB0_9:
	v_cmp_ngt_f32_e64 s[16:17], s25, 0
	s_and_b64 vcc, exec, s[16:17]
	s_cbranch_vccz .LBB0_52
.LBB0_10:
	v_cmp_ngt_f32_e64 s[16:17], s26, 0
	s_and_b64 vcc, exec, s[16:17]
	s_cbranch_vccz .LBB0_53
.LBB0_11:
	v_cmp_ngt_f32_e64 s[16:17], s27, 0
	s_and_b64 vcc, exec, s[16:17]
	s_cbranch_vccz .LBB0_54
.LBB0_12:
	v_cmp_ngt_f32_e64 s[16:17], s28, 0
	s_and_b64 vcc, exec, s[16:17]
	s_cbranch_vccz .LBB0_55
.LBB0_13:
	v_cmp_ngt_f32_e64 s[16:17], s29, 0
	s_and_b64 vcc, exec, s[16:17]
	s_cbranch_vccz .LBB0_56
.LBB0_14:
	v_cmp_ngt_f32_e64 s[16:17], s30, 0
	s_and_b64 vcc, exec, s[16:17]
	s_cbranch_vccz .LBB0_57
.LBB0_15:
	v_cmp_ngt_f32_e64 s[16:17], s31, 0
	s_and_b64 vcc, exec, s[16:17]
	s_cbranch_vccz .LBB0_58
.LBB0_16:
	v_cmp_ngt_f32_e64 s[16:17], s0, 0
	s_and_b64 vcc, exec, s[16:17]
	s_cbranch_vccz .LBB0_59
.LBB0_17:
	v_cmp_ngt_f32_e64 s[0:1], s1, 0
	s_and_b64 vcc, exec, s[0:1]
	s_cbranch_vccz .LBB0_60
.LBB0_18:
	v_cmp_ngt_f32_e64 s[0:1], s2, 0
	s_and_b64 vcc, exec, s[0:1]
	s_cbranch_vccz .LBB0_61
.LBB0_19:
	v_cmp_ngt_f32_e64 s[0:1], s3, 0
	s_and_b64 vcc, exec, s[0:1]
	s_cbranch_vccz .LBB0_62
.LBB0_20:
	v_cmp_ngt_f32_e64 s[0:1], s4, 0
	s_and_b64 vcc, exec, s[0:1]
	s_cbranch_vccz .LBB0_63
.LBB0_21:
	v_cmp_ngt_f32_e64 s[0:1], s5, 0
	s_and_b64 vcc, exec, s[0:1]
	s_cbranch_vccz .LBB0_64
.LBB0_22:
	v_cmp_ngt_f32_e64 s[0:1], s6, 0
	s_and_b64 vcc, exec, s[0:1]
	s_cbranch_vccz .LBB0_65
.LBB0_23:
	v_cmp_ngt_f32_e64 s[0:1], s7, 0
	s_and_b64 vcc, exec, s[0:1]
	s_cbranch_vccz .LBB0_66
.LBB0_24:
	v_cmp_ngt_f32_e64 s[0:1], s8, 0
	s_and_b64 vcc, exec, s[0:1]
	s_cbranch_vccz .LBB0_67
.LBB0_25:
	v_cmp_ngt_f32_e64 s[0:1], s9, 0
	s_and_b64 vcc, exec, s[0:1]
	s_cbranch_vccz .LBB0_68
.LBB0_26:
	v_cmp_ngt_f32_e64 s[0:1], s10, 0
	s_and_b64 vcc, exec, s[0:1]
	s_cbranch_vccz .LBB0_69
.LBB0_27:
	v_cmp_ngt_f32_e64 s[0:1], s11, 0
	s_and_b64 vcc, exec, s[0:1]
	s_cbranch_vccz .LBB0_70
.LBB0_28:
	v_cmp_ngt_f32_e64 s[0:1], s12, 0
	s_and_b64 vcc, exec, s[0:1]
	s_cbranch_vccz .LBB0_71
.LBB0_29:
	v_cmp_ngt_f32_e64 s[0:1], s13, 0
	s_and_b64 vcc, exec, s[0:1]
	s_cbranch_vccz .LBB0_72
.LBB0_30:
	v_cmp_ngt_f32_e64 s[0:1], s14, 0
	s_and_b64 vcc, exec, s[0:1]
	s_cbranch_vccz .LBB0_73
.LBB0_31:
	v_cmp_ngt_f32_e64 s[0:1], s15, 0
	s_and_b64 vcc, exec, s[0:1]
	s_cbranch_vccz .LBB0_74
.LBB0_32:
	v_cmp_ngt_f32_e64 s[0:1], s36, 0
	s_and_b64 vcc, exec, s[0:1]
	s_cbranch_vccz .LBB0_75
.LBB0_33:
	v_cmp_ngt_f32_e64 s[0:1], s37, 0
	s_and_b64 vcc, exec, s[0:1]
	s_cbranch_vccz .LBB0_76
.LBB0_34:
	v_cmp_ngt_f32_e64 s[0:1], s38, 0
	s_and_b64 vcc, exec, s[0:1]
	s_cbranch_vccz .LBB0_77
.LBB0_35:
	v_cmp_ngt_f32_e64 s[0:1], s39, 0
	s_and_b64 vcc, exec, s[0:1]
	s_cbranch_vccz .LBB0_78
.LBB0_36:
	v_cmp_ngt_f32_e64 s[0:1], s40, 0
	s_and_b64 vcc, exec, s[0:1]
	s_cbranch_vccz .LBB0_79
.LBB0_37:
	v_cmp_ngt_f32_e64 s[0:1], s41, 0
	s_and_b64 vcc, exec, s[0:1]
	s_cbranch_vccz .LBB0_80
.LBB0_38:
	v_cmp_ngt_f32_e64 s[0:1], s42, 0
	s_and_b64 vcc, exec, s[0:1]
	s_cbranch_vccz .LBB0_81
.LBB0_39:
	v_cmp_ngt_f32_e64 s[0:1], s43, 0
	s_and_b64 vcc, exec, s[0:1]
	s_cbranch_vccz .LBB0_82
.LBB0_40:
	v_cmp_ngt_f32_e64 s[0:1], s34, 0
	s_and_b64 vcc, exec, s[0:1]
	s_cbranch_vccz .LBB0_83
.LBB0_41:
	v_cmp_ngt_f32_e64 s[0:1], s35, 0
	s_and_b64 vcc, exec, s[0:1]
	s_cbranch_vccz .LBB0_84
.LBB0_42:
	s_endpgm
.LBB0_43:
	s_add_u32 s50, s44, 0xa4
	s_addc_u32 s51, s45, 0
	s_add_u32 s48, s46, 0x110
	s_addc_u32 s49, s47, 0
	v_mov_b32_e32 v0, 0
	v_mov_b32_e32 v1, s35
	global_store_dword v0, v1, s[46:47] offset:272
	v_cmp_ngt_f32_e64 s[16:17], s17, 0
	s_and_b64 vcc, exec, s[16:17]
	s_cbranch_vccnz .LBB0_2
.LBB0_44:
	v_mov_b32_e32 v0, 0
	global_load_dword v1, v0, s[50:51] offset:-4
	s_add_u32 s16, s48, -4
	s_addc_u32 s17, s49, -1
	s_add_u32 s50, s50, -4
	s_addc_u32 s51, s51, -1
	s_waitcnt vmcnt(0)
	global_store_dword v0, v1, s[48:49] offset:-4
	s_mov_b64 s[48:49], s[16:17]
	v_cmp_ngt_f32_e64 s[16:17], s18, 0
	s_and_b64 vcc, exec, s[16:17]
	s_cbranch_vccnz .LBB0_3
.LBB0_45:
	v_mov_b32_e32 v0, 0
	global_load_dword v1, v0, s[50:51] offset:-4
	s_add_u32 s16, s48, -4
	s_addc_u32 s17, s49, -1
	s_add_u32 s50, s50, -4
	s_addc_u32 s51, s51, -1
	s_waitcnt vmcnt(0)
	global_store_dword v0, v1, s[48:49] offset:-4
	s_mov_b64 s[48:49], s[16:17]
	v_cmp_ngt_f32_e64 s[16:17], s19, 0
	s_and_b64 vcc, exec, s[16:17]
	s_cbranch_vccnz .LBB0_4
.LBB0_46:
	v_mov_b32_e32 v0, 0
	global_load_dword v1, v0, s[50:51] offset:-4
	s_add_u32 s16, s48, -4
	s_addc_u32 s17, s49, -1
	s_add_u32 s50, s50, -4
	s_addc_u32 s51, s51, -1
	s_waitcnt vmcnt(0)
	global_store_dword v0, v1, s[48:49] offset:-4
	s_mov_b64 s[48:49], s[16:17]
	v_cmp_ngt_f32_e64 s[16:17], s20, 0
	s_and_b64 vcc, exec, s[16:17]
	s_cbranch_vccnz .LBB0_5
.LBB0_47:
	v_mov_b32_e32 v0, 0
	global_load_dword v1, v0, s[50:51] offset:-4
	s_add_u32 s16, s48, -4
	s_addc_u32 s17, s49, -1
	s_add_u32 s50, s50, -4
	s_addc_u32 s51, s51, -1
	s_waitcnt vmcnt(0)
	global_store_dword v0, v1, s[48:49] offset:-4
	s_mov_b64 s[48:49], s[16:17]
	v_cmp_ngt_f32_e64 s[16:17], s21, 0
	s_and_b64 vcc, exec, s[16:17]
	s_cbranch_vccnz .LBB0_6
.LBB0_48:
	v_mov_b32_e32 v0, 0
	global_load_dword v1, v0, s[50:51] offset:-4
	s_add_u32 s16, s48, -4
	s_addc_u32 s17, s49, -1
	s_add_u32 s50, s50, -4
	s_addc_u32 s51, s51, -1
	s_waitcnt vmcnt(0)
	global_store_dword v0, v1, s[48:49] offset:-4
	s_mov_b64 s[48:49], s[16:17]
	v_cmp_ngt_f32_e64 s[16:17], s22, 0
	s_and_b64 vcc, exec, s[16:17]
	s_cbranch_vccnz .LBB0_7
.LBB0_49:
	v_mov_b32_e32 v0, 0
	global_load_dword v1, v0, s[50:51] offset:-4
	s_add_u32 s16, s48, -4
	s_addc_u32 s17, s49, -1
	s_add_u32 s50, s50, -4
	s_addc_u32 s51, s51, -1
	s_waitcnt vmcnt(0)
	global_store_dword v0, v1, s[48:49] offset:-4
	s_mov_b64 s[48:49], s[16:17]
	v_cmp_ngt_f32_e64 s[16:17], s23, 0
	s_and_b64 vcc, exec, s[16:17]
	s_cbranch_vccnz .LBB0_8
.LBB0_50:
	v_mov_b32_e32 v0, 0
	global_load_dword v1, v0, s[50:51] offset:-4
	s_add_u32 s16, s48, -4
	s_addc_u32 s17, s49, -1
	s_add_u32 s50, s50, -4
	s_addc_u32 s51, s51, -1
	s_waitcnt vmcnt(0)
	global_store_dword v0, v1, s[48:49] offset:-4
	s_mov_b64 s[48:49], s[16:17]
	v_cmp_ngt_f32_e64 s[16:17], s24, 0
	s_and_b64 vcc, exec, s[16:17]
	s_cbranch_vccnz .LBB0_9
.LBB0_51:
	v_mov_b32_e32 v0, 0
	global_load_dword v1, v0, s[50:51] offset:-4
	s_add_u32 s16, s48, -4
	s_addc_u32 s17, s49, -1
	s_add_u32 s50, s50, -4
	s_addc_u32 s51, s51, -1
	s_waitcnt vmcnt(0)
	global_store_dword v0, v1, s[48:49] offset:-4
	s_mov_b64 s[48:49], s[16:17]
	v_cmp_ngt_f32_e64 s[16:17], s25, 0
	s_and_b64 vcc, exec, s[16:17]
	s_cbranch_vccnz .LBB0_10
.LBB0_52:
	v_mov_b32_e32 v0, 0
	global_load_dword v1, v0, s[50:51] offset:-4
	s_add_u32 s16, s48, -4
	s_addc_u32 s17, s49, -1
	s_add_u32 s50, s50, -4
	s_addc_u32 s51, s51, -1
	s_waitcnt vmcnt(0)
	global_store_dword v0, v1, s[48:49] offset:-4
	s_mov_b64 s[48:49], s[16:17]
	v_cmp_ngt_f32_e64 s[16:17], s26, 0
	s_and_b64 vcc, exec, s[16:17]
	s_cbranch_vccnz .LBB0_11
.LBB0_53:
	v_mov_b32_e32 v0, 0
	global_load_dword v1, v0, s[50:51] offset:-4
	s_add_u32 s16, s48, -4
	s_addc_u32 s17, s49, -1
	s_add_u32 s50, s50, -4
	s_addc_u32 s51, s51, -1
	s_waitcnt vmcnt(0)
	global_store_dword v0, v1, s[48:49] offset:-4
	s_mov_b64 s[48:49], s[16:17]
	v_cmp_ngt_f32_e64 s[16:17], s27, 0
	s_and_b64 vcc, exec, s[16:17]
	s_cbranch_vccnz .LBB0_12
.LBB0_54:
	v_mov_b32_e32 v0, 0
	global_load_dword v1, v0, s[50:51] offset:-4
	s_add_u32 s16, s48, -4
	s_addc_u32 s17, s49, -1
	s_add_u32 s50, s50, -4
	s_addc_u32 s51, s51, -1
	s_waitcnt vmcnt(0)
	global_store_dword v0, v1, s[48:49] offset:-4
	s_mov_b64 s[48:49], s[16:17]
	v_cmp_ngt_f32_e64 s[16:17], s28, 0
	s_and_b64 vcc, exec, s[16:17]
	s_cbranch_vccnz .LBB0_13
.LBB0_55:
	v_mov_b32_e32 v0, 0
	global_load_dword v1, v0, s[50:51] offset:-4
	s_add_u32 s16, s48, -4
	s_addc_u32 s17, s49, -1
	s_add_u32 s50, s50, -4
	s_addc_u32 s51, s51, -1
	s_waitcnt vmcnt(0)
	global_store_dword v0, v1, s[48:49] offset:-4
	s_mov_b64 s[48:49], s[16:17]
	v_cmp_ngt_f32_e64 s[16:17], s29, 0
	s_and_b64 vcc, exec, s[16:17]
	s_cbranch_vccnz .LBB0_14
.LBB0_56:
	v_mov_b32_e32 v0, 0
	global_load_dword v1, v0, s[50:51] offset:-4
	s_add_u32 s16, s48, -4
	s_addc_u32 s17, s49, -1
	s_add_u32 s50, s50, -4
	s_addc_u32 s51, s51, -1
	s_waitcnt vmcnt(0)
	global_store_dword v0, v1, s[48:49] offset:-4
	s_mov_b64 s[48:49], s[16:17]
	v_cmp_ngt_f32_e64 s[16:17], s30, 0
	s_and_b64 vcc, exec, s[16:17]
	s_cbranch_vccnz .LBB0_15
.LBB0_57:
	v_mov_b32_e32 v0, 0
	global_load_dword v1, v0, s[50:51] offset:-4
	s_add_u32 s16, s48, -4
	s_addc_u32 s17, s49, -1
	s_add_u32 s50, s50, -4
	s_addc_u32 s51, s51, -1
	s_waitcnt vmcnt(0)
	global_store_dword v0, v1, s[48:49] offset:-4
	s_mov_b64 s[48:49], s[16:17]
	v_cmp_ngt_f32_e64 s[16:17], s31, 0
	s_and_b64 vcc, exec, s[16:17]
	s_cbranch_vccnz .LBB0_16
.LBB0_58:
	v_mov_b32_e32 v0, 0
	global_load_dword v1, v0, s[50:51] offset:-4
	s_add_u32 s16, s48, -4
	s_addc_u32 s17, s49, -1
	s_add_u32 s50, s50, -4
	s_addc_u32 s51, s51, -1
	s_waitcnt vmcnt(0)
	global_store_dword v0, v1, s[48:49] offset:-4
	s_mov_b64 s[48:49], s[16:17]
	v_cmp_ngt_f32_e64 s[16:17], s0, 0
	s_and_b64 vcc, exec, s[16:17]
	s_cbranch_vccnz .LBB0_17
.LBB0_59:
	v_mov_b32_e32 v0, 0
	global_load_dword v1, v0, s[50:51] offset:-4
	s_add_u32 s16, s48, -4
	s_addc_u32 s17, s49, -1
	s_add_u32 s50, s50, -4
	s_addc_u32 s51, s51, -1
	s_waitcnt vmcnt(0)
	global_store_dword v0, v1, s[48:49] offset:-4
	s_mov_b64 s[48:49], s[16:17]
	v_cmp_ngt_f32_e64 s[0:1], s1, 0
	s_and_b64 vcc, exec, s[0:1]
	s_cbranch_vccnz .LBB0_18
.LBB0_60:
	v_mov_b32_e32 v0, 0
	global_load_dword v1, v0, s[50:51] offset:-4
	s_add_u32 s0, s48, -4
	s_addc_u32 s1, s49, -1
	s_add_u32 s50, s50, -4
	s_addc_u32 s51, s51, -1
	s_waitcnt vmcnt(0)
	global_store_dword v0, v1, s[48:49] offset:-4
	s_mov_b64 s[48:49], s[0:1]
	v_cmp_ngt_f32_e64 s[0:1], s2, 0
	s_and_b64 vcc, exec, s[0:1]
	s_cbranch_vccnz .LBB0_19
.LBB0_61:
	v_mov_b32_e32 v0, 0
	global_load_dword v1, v0, s[50:51] offset:-4
	s_add_u32 s0, s48, -4
	s_addc_u32 s1, s49, -1
	s_add_u32 s50, s50, -4
	s_addc_u32 s51, s51, -1
	s_waitcnt vmcnt(0)
	global_store_dword v0, v1, s[48:49] offset:-4
	s_mov_b64 s[48:49], s[0:1]
	v_cmp_ngt_f32_e64 s[0:1], s3, 0
	s_and_b64 vcc, exec, s[0:1]
	s_cbranch_vccnz .LBB0_20
.LBB0_62:
	v_mov_b32_e32 v0, 0
	global_load_dword v1, v0, s[50:51] offset:-4
	s_add_u32 s0, s48, -4
	s_addc_u32 s1, s49, -1
	s_add_u32 s50, s50, -4
	s_addc_u32 s51, s51, -1
	s_waitcnt vmcnt(0)
	global_store_dword v0, v1, s[48:49] offset:-4
	s_mov_b64 s[48:49], s[0:1]
	v_cmp_ngt_f32_e64 s[0:1], s4, 0
	s_and_b64 vcc, exec, s[0:1]
	s_cbranch_vccnz .LBB0_21
.LBB0_63:
	v_mov_b32_e32 v0, 0
	global_load_dword v1, v0, s[50:51] offset:-4
	s_add_u32 s0, s48, -4
	s_addc_u32 s1, s49, -1
	s_add_u32 s50, s50, -4
	s_addc_u32 s51, s51, -1
	s_waitcnt vmcnt(0)
	global_store_dword v0, v1, s[48:49] offset:-4
	s_mov_b64 s[48:49], s[0:1]
	v_cmp_ngt_f32_e64 s[0:1], s5, 0
	s_and_b64 vcc, exec, s[0:1]
	s_cbranch_vccnz .LBB0_22
.LBB0_64:
	v_mov_b32_e32 v0, 0
	global_load_dword v1, v0, s[50:51] offset:-4
	s_add_u32 s0, s48, -4
	s_addc_u32 s1, s49, -1
	s_add_u32 s50, s50, -4
	s_addc_u32 s51, s51, -1
	s_waitcnt vmcnt(0)
	global_store_dword v0, v1, s[48:49] offset:-4
	s_mov_b64 s[48:49], s[0:1]
	v_cmp_ngt_f32_e64 s[0:1], s6, 0
	s_and_b64 vcc, exec, s[0:1]
	s_cbranch_vccnz .LBB0_23
.LBB0_65:
	v_mov_b32_e32 v0, 0
	global_load_dword v1, v0, s[50:51] offset:-4
	s_add_u32 s0, s48, -4
	s_addc_u32 s1, s49, -1
	s_add_u32 s50, s50, -4
	s_addc_u32 s51, s51, -1
	s_waitcnt vmcnt(0)
	global_store_dword v0, v1, s[48:49] offset:-4
	s_mov_b64 s[48:49], s[0:1]
	v_cmp_ngt_f32_e64 s[0:1], s7, 0
	s_and_b64 vcc, exec, s[0:1]
	s_cbranch_vccnz .LBB0_24
.LBB0_66:
	v_mov_b32_e32 v0, 0
	global_load_dword v1, v0, s[50:51] offset:-4
	s_add_u32 s0, s48, -4
	s_addc_u32 s1, s49, -1
	s_add_u32 s50, s50, -4
	s_addc_u32 s51, s51, -1
	s_waitcnt vmcnt(0)
	global_store_dword v0, v1, s[48:49] offset:-4
	s_mov_b64 s[48:49], s[0:1]
	v_cmp_ngt_f32_e64 s[0:1], s8, 0
	s_and_b64 vcc, exec, s[0:1]
	s_cbranch_vccnz .LBB0_25
.LBB0_67:
	v_mov_b32_e32 v0, 0
	global_load_dword v1, v0, s[50:51] offset:-4
	s_add_u32 s0, s48, -4
	s_addc_u32 s1, s49, -1
	s_add_u32 s50, s50, -4
	s_addc_u32 s51, s51, -1
	s_waitcnt vmcnt(0)
	global_store_dword v0, v1, s[48:49] offset:-4
	s_mov_b64 s[48:49], s[0:1]
	v_cmp_ngt_f32_e64 s[0:1], s9, 0
	s_and_b64 vcc, exec, s[0:1]
	s_cbranch_vccnz .LBB0_26
.LBB0_68:
	v_mov_b32_e32 v0, 0
	global_load_dword v1, v0, s[50:51] offset:-4
	s_add_u32 s0, s48, -4
	s_addc_u32 s1, s49, -1
	s_add_u32 s50, s50, -4
	s_addc_u32 s51, s51, -1
	s_waitcnt vmcnt(0)
	global_store_dword v0, v1, s[48:49] offset:-4
	s_mov_b64 s[48:49], s[0:1]
	v_cmp_ngt_f32_e64 s[0:1], s10, 0
	s_and_b64 vcc, exec, s[0:1]
	s_cbranch_vccnz .LBB0_27
.LBB0_69:
	v_mov_b32_e32 v0, 0
	global_load_dword v1, v0, s[50:51] offset:-4
	s_add_u32 s0, s48, -4
	s_addc_u32 s1, s49, -1
	s_add_u32 s50, s50, -4
	s_addc_u32 s51, s51, -1
	s_waitcnt vmcnt(0)
	global_store_dword v0, v1, s[48:49] offset:-4
	s_mov_b64 s[48:49], s[0:1]
	v_cmp_ngt_f32_e64 s[0:1], s11, 0
	s_and_b64 vcc, exec, s[0:1]
	s_cbranch_vccnz .LBB0_28
.LBB0_70:
	v_mov_b32_e32 v0, 0
	global_load_dword v1, v0, s[50:51] offset:-4
	s_add_u32 s0, s48, -4
	s_addc_u32 s1, s49, -1
	s_add_u32 s50, s50, -4
	s_addc_u32 s51, s51, -1
	s_waitcnt vmcnt(0)
	global_store_dword v0, v1, s[48:49] offset:-4
	s_mov_b64 s[48:49], s[0:1]
	v_cmp_ngt_f32_e64 s[0:1], s12, 0
	s_and_b64 vcc, exec, s[0:1]
	s_cbranch_vccnz .LBB0_29
.LBB0_71:
	v_mov_b32_e32 v0, 0
	global_load_dword v1, v0, s[50:51] offset:-4
	s_add_u32 s0, s48, -4
	s_addc_u32 s1, s49, -1
	s_add_u32 s50, s50, -4
	s_addc_u32 s51, s51, -1
	s_waitcnt vmcnt(0)
	global_store_dword v0, v1, s[48:49] offset:-4
	s_mov_b64 s[48:49], s[0:1]
	v_cmp_ngt_f32_e64 s[0:1], s13, 0
	s_and_b64 vcc, exec, s[0:1]
	s_cbranch_vccnz .LBB0_30
.LBB0_72:
	v_mov_b32_e32 v0, 0
	global_load_dword v1, v0, s[50:51] offset:-4
	s_add_u32 s0, s48, -4
	s_addc_u32 s1, s49, -1
	s_add_u32 s50, s50, -4
	s_addc_u32 s51, s51, -1
	s_waitcnt vmcnt(0)
	global_store_dword v0, v1, s[48:49] offset:-4
	s_mov_b64 s[48:49], s[0:1]
	v_cmp_ngt_f32_e64 s[0:1], s14, 0
	s_and_b64 vcc, exec, s[0:1]
	s_cbranch_vccnz .LBB0_31
.LBB0_73:
	v_mov_b32_e32 v0, 0
	global_load_dword v1, v0, s[50:51] offset:-4
	s_add_u32 s0, s48, -4
	s_addc_u32 s1, s49, -1
	s_add_u32 s50, s50, -4
	s_addc_u32 s51, s51, -1
	s_waitcnt vmcnt(0)
	global_store_dword v0, v1, s[48:49] offset:-4
	s_mov_b64 s[48:49], s[0:1]
	v_cmp_ngt_f32_e64 s[0:1], s15, 0
	s_and_b64 vcc, exec, s[0:1]
	s_cbranch_vccnz .LBB0_32
.LBB0_74:
	v_mov_b32_e32 v0, 0
	global_load_dword v1, v0, s[50:51] offset:-4
	s_add_u32 s0, s48, -4
	s_addc_u32 s1, s49, -1
	s_add_u32 s50, s50, -4
	s_addc_u32 s51, s51, -1
	s_waitcnt vmcnt(0)
	global_store_dword v0, v1, s[48:49] offset:-4
	s_mov_b64 s[48:49], s[0:1]
	v_cmp_ngt_f32_e64 s[0:1], s36, 0
	s_and_b64 vcc, exec, s[0:1]
	s_cbranch_vccnz .LBB0_33
.LBB0_75:
	v_mov_b32_e32 v0, 0
	global_load_dword v1, v0, s[50:51] offset:-4
	s_add_u32 s0, s48, -4
	s_addc_u32 s1, s49, -1
	s_add_u32 s50, s50, -4
	s_addc_u32 s51, s51, -1
	s_waitcnt vmcnt(0)
	global_store_dword v0, v1, s[48:49] offset:-4
	s_mov_b64 s[48:49], s[0:1]
	v_cmp_ngt_f32_e64 s[0:1], s37, 0
	s_and_b64 vcc, exec, s[0:1]
	s_cbranch_vccnz .LBB0_34
.LBB0_76:
	v_mov_b32_e32 v0, 0
	global_load_dword v1, v0, s[50:51] offset:-4
	s_add_u32 s0, s48, -4
	s_addc_u32 s1, s49, -1
	s_add_u32 s50, s50, -4
	s_addc_u32 s51, s51, -1
	s_waitcnt vmcnt(0)
	global_store_dword v0, v1, s[48:49] offset:-4
	s_mov_b64 s[48:49], s[0:1]
	v_cmp_ngt_f32_e64 s[0:1], s38, 0
	s_and_b64 vcc, exec, s[0:1]
	s_cbranch_vccnz .LBB0_35
.LBB0_77:
	v_mov_b32_e32 v0, 0
	global_load_dword v1, v0, s[50:51] offset:-4
	s_add_u32 s0, s48, -4
	s_addc_u32 s1, s49, -1
	s_add_u32 s50, s50, -4
	s_addc_u32 s51, s51, -1
	s_waitcnt vmcnt(0)
	global_store_dword v0, v1, s[48:49] offset:-4
	s_mov_b64 s[48:49], s[0:1]
	v_cmp_ngt_f32_e64 s[0:1], s39, 0
	s_and_b64 vcc, exec, s[0:1]
	s_cbranch_vccnz .LBB0_36
.LBB0_78:
	v_mov_b32_e32 v0, 0
	global_load_dword v1, v0, s[50:51] offset:-4
	s_add_u32 s0, s48, -4
	s_addc_u32 s1, s49, -1
	s_add_u32 s50, s50, -4
	s_addc_u32 s51, s51, -1
	s_waitcnt vmcnt(0)
	global_store_dword v0, v1, s[48:49] offset:-4
	s_mov_b64 s[48:49], s[0:1]
	v_cmp_ngt_f32_e64 s[0:1], s40, 0
	s_and_b64 vcc, exec, s[0:1]
	s_cbranch_vccnz .LBB0_37
.LBB0_79:
	v_mov_b32_e32 v0, 0
	global_load_dword v1, v0, s[50:51] offset:-4
	s_add_u32 s0, s48, -4
	s_addc_u32 s1, s49, -1
	s_add_u32 s50, s50, -4
	s_addc_u32 s51, s51, -1
	s_waitcnt vmcnt(0)
	global_store_dword v0, v1, s[48:49] offset:-4
	s_mov_b64 s[48:49], s[0:1]
	v_cmp_ngt_f32_e64 s[0:1], s41, 0
	s_and_b64 vcc, exec, s[0:1]
	s_cbranch_vccnz .LBB0_38
.LBB0_80:
	v_mov_b32_e32 v0, 0
	global_load_dword v1, v0, s[50:51] offset:-4
	s_add_u32 s0, s48, -4
	s_addc_u32 s1, s49, -1
	s_add_u32 s50, s50, -4
	s_addc_u32 s51, s51, -1
	s_waitcnt vmcnt(0)
	global_store_dword v0, v1, s[48:49] offset:-4
	s_mov_b64 s[48:49], s[0:1]
	v_cmp_ngt_f32_e64 s[0:1], s42, 0
	s_and_b64 vcc, exec, s[0:1]
	s_cbranch_vccnz .LBB0_39
.LBB0_81:
	v_mov_b32_e32 v0, 0
	global_load_dword v1, v0, s[50:51] offset:-4
	s_add_u32 s0, s48, -4
	s_addc_u32 s1, s49, -1
	s_add_u32 s50, s50, -4
	s_addc_u32 s51, s51, -1
	s_waitcnt vmcnt(0)
	global_store_dword v0, v1, s[48:49] offset:-4
	s_mov_b64 s[48:49], s[0:1]
	v_cmp_ngt_f32_e64 s[0:1], s43, 0
	s_and_b64 vcc, exec, s[0:1]
	s_cbranch_vccnz .LBB0_40
.LBB0_82:
	v_mov_b32_e32 v0, 0
	global_load_dword v1, v0, s[50:51] offset:-4
	s_add_u32 s0, s48, -4
	s_addc_u32 s1, s49, -1
	s_add_u32 s50, s50, -4
	s_addc_u32 s51, s51, -1
	s_waitcnt vmcnt(0)
	global_store_dword v0, v1, s[48:49] offset:-4
	s_mov_b64 s[48:49], s[0:1]
	v_cmp_ngt_f32_e64 s[0:1], s34, 0
	s_and_b64 vcc, exec, s[0:1]
	s_cbranch_vccnz .LBB0_41
.LBB0_83:
	v_mov_b32_e32 v0, 0
	global_load_dword v1, v0, s[50:51] offset:-4
	s_add_u32 s0, s48, -4
	s_addc_u32 s1, s49, -1
	s_add_u32 s50, s50, -4
	s_addc_u32 s51, s51, -1
	s_waitcnt vmcnt(0)
	global_store_dword v0, v1, s[48:49] offset:-4
	s_mov_b64 s[48:49], s[0:1]
	v_cmp_ngt_f32_e64 s[0:1], s35, 0
	s_and_b64 vcc, exec, s[0:1]
	s_cbranch_vccnz .LBB0_42
.LBB0_84:
	v_mov_b32_e32 v0, 0
	global_load_dword v1, v0, s[50:51] offset:-4
	s_waitcnt vmcnt(0)
	global_store_dword v0, v1, s[48:49] offset:-4
	s_endpgm
	.section	.rodata,"a",@progbits
	.p2align	6, 0x0
	.amdhsa_kernel _Z2fnPfS_
		.amdhsa_group_segment_fixed_size 0
		.amdhsa_private_segment_fixed_size 0
		.amdhsa_kernarg_size 16
		.amdhsa_user_sgpr_count 6
		.amdhsa_user_sgpr_private_segment_buffer 1
		.amdhsa_user_sgpr_dispatch_ptr 0
		.amdhsa_user_sgpr_queue_ptr 0
		.amdhsa_user_sgpr_kernarg_segment_ptr 1
		.amdhsa_user_sgpr_dispatch_id 0
		.amdhsa_user_sgpr_flat_scratch_init 0
		.amdhsa_user_sgpr_private_segment_size 0
		.amdhsa_uses_dynamic_stack 0
		.amdhsa_system_sgpr_private_segment_wavefront_offset 0
		.amdhsa_system_sgpr_workgroup_id_x 1
		.amdhsa_system_sgpr_workgroup_id_y 0
		.amdhsa_system_sgpr_workgroup_id_z 0
		.amdhsa_system_sgpr_workgroup_info 0
		.amdhsa_system_vgpr_workitem_id 0
		.amdhsa_next_free_vgpr 2
		.amdhsa_next_free_sgpr 54
		.amdhsa_reserve_vcc 1
		.amdhsa_reserve_flat_scratch 0
		.amdhsa_float_round_mode_32 0
		.amdhsa_float_round_mode_16_64 0
		.amdhsa_float_denorm_mode_32 3
		.amdhsa_float_denorm_mode_16_64 3
		.amdhsa_dx10_clamp 1
		.amdhsa_ieee_mode 1
		.amdhsa_fp16_overflow 0
		.amdhsa_exception_fp_ieee_invalid_op 0
		.amdhsa_exception_fp_denorm_src 0
		.amdhsa_exception_fp_ieee_div_zero 0
		.amdhsa_exception_fp_ieee_overflow 0
		.amdhsa_exception_fp_ieee_underflow 0
		.amdhsa_exception_fp_ieee_inexact 0
		.amdhsa_exception_int_div_zero 0
	.end_amdhsa_kernel
	.text
.Lfunc_end0:
	.size	_Z2fnPfS_, .Lfunc_end0-_Z2fnPfS_
                                        ; -- End function
	.set _Z2fnPfS_.num_vgpr, 2
	.set _Z2fnPfS_.num_agpr, 0
	.set _Z2fnPfS_.numbered_sgpr, 54
	.set _Z2fnPfS_.num_named_barrier, 0
	.set _Z2fnPfS_.private_seg_size, 0
	.set _Z2fnPfS_.uses_vcc, 1
	.set _Z2fnPfS_.uses_flat_scratch, 0
	.set _Z2fnPfS_.has_dyn_sized_stack, 0
	.set _Z2fnPfS_.has_recursion, 0
	.set _Z2fnPfS_.has_indirect_call, 0
	.section	.AMDGPU.csdata,"",@progbits
; Kernel info:
; codeLenInByte = 3232
; TotalNumSgprs: 58
; NumVgprs: 2
; ScratchSize: 0
; MemoryBound: 1
; FloatMode: 240
; IeeeMode: 1
; LDSByteSize: 0 bytes/workgroup (compile time only)
; SGPRBlocks: 7
; VGPRBlocks: 0
; NumSGPRsForWavesPerEU: 58
; NumVGPRsForWavesPerEU: 2
; Occupancy: 10
; WaveLimiterHint : 0
; COMPUTE_PGM_RSRC2:SCRATCH_EN: 0
; COMPUTE_PGM_RSRC2:USER_SGPR: 6
; COMPUTE_PGM_RSRC2:TRAP_HANDLER: 0
; COMPUTE_PGM_RSRC2:TGID_X_EN: 1
; COMPUTE_PGM_RSRC2:TGID_Y_EN: 0
; COMPUTE_PGM_RSRC2:TGID_Z_EN: 0
; COMPUTE_PGM_RSRC2:TIDIG_COMP_CNT: 0
	.section	.AMDGPU.gpr_maximums,"",@progbits
	.set amdgpu.max_num_vgpr, 0
	.set amdgpu.max_num_agpr, 0
	.set amdgpu.max_num_sgpr, 0
	.section	.AMDGPU.csdata,"",@progbits
	.type	__hip_cuid_8aff9a3a44227ae3,@object ; @__hip_cuid_8aff9a3a44227ae3
	.section	.bss,"aw",@nobits
	.globl	__hip_cuid_8aff9a3a44227ae3
__hip_cuid_8aff9a3a44227ae3:
	.byte	0                               ; 0x0
	.size	__hip_cuid_8aff9a3a44227ae3, 1

	.ident	"AMD clang version 22.0.0git (https://github.com/RadeonOpenCompute/llvm-project roc-7.2.4 26084 f58b06dce1f9c15707c5f808fd002e18c2accf7e)"
	.section	".note.GNU-stack","",@progbits
	.addrsig
	.addrsig_sym __hip_cuid_8aff9a3a44227ae3
	.amdgpu_metadata
---
amdhsa.kernels:
  - .args:
      - .address_space:  global
        .offset:         0
        .size:           8
        .value_kind:     global_buffer
      - .address_space:  global
        .offset:         8
        .size:           8
        .value_kind:     global_buffer
    .group_segment_fixed_size: 0
    .kernarg_segment_align: 8
    .kernarg_segment_size: 16
    .language:       OpenCL C
    .language_version:
      - 2
      - 0
    .max_flat_workgroup_size: 1024
    .name:           _Z2fnPfS_
    .private_segment_fixed_size: 0
    .sgpr_count:     58
    .sgpr_spill_count: 0
    .symbol:         _Z2fnPfS_.kd
    .uniform_work_group_size: 1
    .uses_dynamic_stack: false
    .vgpr_count:     2
    .vgpr_spill_count: 0
    .wavefront_size: 64
amdhsa.target:   amdgcn-amd-amdhsa--gfx906
amdhsa.version:
  - 1
  - 2
...

	.end_amdgpu_metadata
